;; amdgpu-corpus repo=ROCm/rocFFT kind=compiled arch=gfx1030 opt=O3
	.text
	.amdgcn_target "amdgcn-amd-amdhsa--gfx1030"
	.amdhsa_code_object_version 6
	.protected	fft_rtc_back_len81_factors_9_3_3_wgs_189_tpt_9_dim1_dp_ip_CI_unitstride_sbrr_dirReg ; -- Begin function fft_rtc_back_len81_factors_9_3_3_wgs_189_tpt_9_dim1_dp_ip_CI_unitstride_sbrr_dirReg
	.globl	fft_rtc_back_len81_factors_9_3_3_wgs_189_tpt_9_dim1_dp_ip_CI_unitstride_sbrr_dirReg
	.p2align	8
	.type	fft_rtc_back_len81_factors_9_3_3_wgs_189_tpt_9_dim1_dp_ip_CI_unitstride_sbrr_dirReg,@function
fft_rtc_back_len81_factors_9_3_3_wgs_189_tpt_9_dim1_dp_ip_CI_unitstride_sbrr_dirReg: ; @fft_rtc_back_len81_factors_9_3_3_wgs_189_tpt_9_dim1_dp_ip_CI_unitstride_sbrr_dirReg
; %bb.0:
	s_load_dwordx4 s[8:11], s[4:5], 0x10
	v_mul_u32_u24_e32 v1, 0x1c72, v0
                                        ; implicit-def: $vgpr34_vgpr35
                                        ; implicit-def: $vgpr30_vgpr31
                                        ; implicit-def: $vgpr26_vgpr27
                                        ; implicit-def: $vgpr6_vgpr7
                                        ; implicit-def: $vgpr10_vgpr11
                                        ; implicit-def: $vgpr22_vgpr23
                                        ; implicit-def: $vgpr18_vgpr19
                                        ; implicit-def: $vgpr14_vgpr15
	v_lshrrev_b32_e32 v1, 16, v1
	v_mad_u64_u32 v[38:39], null, s6, 21, v[1:2]
	v_mul_lo_u16 v1, v1, 9
	v_mov_b32_e32 v39, 0
	v_sub_nc_u16 v0, v0, v1
	s_waitcnt lgkmcnt(0)
	s_load_dwordx2 s[0:1], s[8:9], 0x8
	s_clause 0x1
	s_load_dwordx2 s[6:7], s[4:5], 0x0
	s_load_dwordx2 s[2:3], s[4:5], 0x48
	v_cmp_gt_u64_e32 vcc_lo, s[10:11], v[38:39]
	v_and_b32_e32 v40, 0xffff, v0
	v_lshlrev_b32_e32 v39, 4, v40
	s_waitcnt lgkmcnt(0)
	v_mad_u64_u32 v[2:3], null, s0, v38, 0
	v_mad_u64_u32 v[3:4], null, s1, v38, v[3:4]
	v_lshlrev_b64 v[36:37], 4, v[2:3]
                                        ; implicit-def: $vgpr2_vgpr3
	s_and_saveexec_b32 s1, vcc_lo
; %bb.1:
	v_add_co_u32 v0, s0, s2, v36
	v_add_co_ci_u32_e64 v1, s0, s3, v37, s0
	v_add_co_u32 v32, s0, v0, v39
	v_add_co_ci_u32_e64 v33, s0, 0, v1, s0
	s_clause 0x8
	global_load_dwordx4 v[0:3], v[32:33], off
	global_load_dwordx4 v[12:15], v[32:33], off offset:144
	global_load_dwordx4 v[16:19], v[32:33], off offset:288
	;; [unrolled: 1-line block ×8, first 2 shown]
; %bb.2:
	s_or_b32 exec_lo, exec_lo, s1
	s_waitcnt vmcnt(0)
	v_add_f64 v[41:42], v[32:33], v[12:13]
	v_add_f64 v[43:44], v[34:35], v[14:15]
	;; [unrolled: 1-line block ×6, first 2 shown]
	v_add_f64 v[12:13], v[12:13], -v[32:33]
	v_add_f64 v[14:15], v[14:15], -v[34:35]
	v_add_f64 v[57:58], v[4:5], v[8:9]
	v_add_f64 v[16:17], v[16:17], -v[28:29]
	v_add_f64 v[28:29], v[8:9], -v[4:5]
	v_add_f64 v[59:60], v[6:7], v[10:11]
	v_add_f64 v[18:19], v[18:19], -v[30:31]
	v_add_f64 v[34:35], v[10:11], -v[6:7]
	s_mov_b32 s5, 0x3fe491b7
	s_mov_b32 s4, 0x523c161c
	;; [unrolled: 1-line block ×6, first 2 shown]
	v_add_f64 v[20:21], v[20:21], -v[24:25]
	v_add_f64 v[22:23], v[22:23], -v[26:27]
	v_fma_f64 v[24:25], v[41:42], s[0:1], v[0:1]
	v_fma_f64 v[63:64], v[43:44], s[0:1], v[2:3]
	v_add_f64 v[53:54], v[45:46], v[41:42]
	v_add_f64 v[55:56], v[47:48], v[43:44]
	v_fma_f64 v[61:62], v[45:46], s[0:1], v[0:1]
	v_fma_f64 v[67:68], v[47:48], s[0:1], v[2:3]
	v_mul_f64 v[69:70], v[12:13], s[4:5]
	v_mul_f64 v[71:72], v[14:15], s[4:5]
	s_mov_b32 s5, 0xbfe491b7
	v_fma_f64 v[26:27], v[57:58], s[0:1], v[0:1]
	v_mul_f64 v[73:74], v[28:29], s[8:9]
	v_mul_f64 v[75:76], v[28:29], s[4:5]
	v_fma_f64 v[65:66], v[59:60], s[0:1], v[2:3]
	s_mov_b32 s0, 0x7e0b738b
	s_mov_b32 s1, 0x3fc63a1a
	v_mul_hi_u32 v77, 0x86186187, v38
	s_mov_b32 s10, 0x748a0bf8
	s_mov_b32 s11, 0x3fd5e3a8
	v_fma_f64 v[24:25], v[45:46], s[0:1], v[24:25]
	v_fma_f64 v[63:64], v[47:48], s[0:1], v[63:64]
	v_add_f64 v[30:31], v[49:50], v[53:54]
	v_add_f64 v[32:33], v[51:52], v[55:56]
	v_fma_f64 v[61:62], v[57:58], s[0:1], v[61:62]
	v_fma_f64 v[67:68], v[59:60], s[0:1], v[67:68]
	;; [unrolled: 1-line block ×4, first 2 shown]
	v_add_f64 v[53:54], v[57:58], v[53:54]
	v_fma_f64 v[26:27], v[41:42], s[0:1], v[26:27]
	v_fma_f64 v[73:74], v[16:17], s[4:5], -v[73:74]
	v_fma_f64 v[75:76], v[12:13], s[8:9], v[75:76]
	v_fma_f64 v[65:66], v[43:44], s[0:1], v[65:66]
	s_mov_b32 s0, 0xe8584cab
	s_mov_b32 s1, 0x3febb67a
	v_add_f64 v[55:56], v[59:60], v[55:56]
	v_sub_nc_u32_e32 v78, v38, v77
	v_fma_f64 v[24:25], v[49:50], -0.5, v[24:25]
	v_fma_f64 v[63:64], v[51:52], -0.5, v[63:64]
	v_add_f64 v[30:31], v[8:9], v[30:31]
	v_add_f64 v[32:33], v[10:11], v[32:33]
	v_mul_f64 v[8:9], v[34:35], s[8:9]
	v_mul_f64 v[10:11], v[34:35], s[4:5]
	v_fma_f64 v[61:62], v[49:50], -0.5, v[61:62]
	v_fma_f64 v[69:70], v[20:21], s[0:1], v[69:70]
	v_fma_f64 v[67:68], v[51:52], -0.5, v[67:68]
	v_fma_f64 v[26:27], v[49:50], -0.5, v[26:27]
	v_add_f64 v[49:50], v[49:50], v[0:1]
	v_fma_f64 v[73:74], v[20:21], s[0:1], v[73:74]
	v_fma_f64 v[65:66], v[51:52], -0.5, v[65:66]
	v_add_f64 v[51:52], v[51:52], v[2:3]
	v_fma_f64 v[71:72], v[22:23], s[0:1], v[71:72]
	v_fma_f64 v[8:9], v[18:19], s[4:5], -v[8:9]
	v_fma_f64 v[10:11], v[14:15], s[8:9], v[10:11]
	s_mov_b32 s5, 0xbfebb67a
	s_mov_b32 s4, s0
	;; [unrolled: 1-line block ×3, first 2 shown]
	v_fma_f64 v[20:21], v[20:21], s[4:5], v[75:76]
	v_add_f64 v[75:76], v[34:35], v[14:15]
	v_fma_f64 v[49:50], v[53:54], -0.5, v[49:50]
	s_mov_b32 s9, 0xbfee11f6
	v_fma_f64 v[51:52], v[55:56], -0.5, v[51:52]
	v_fma_f64 v[24:25], v[57:58], s[8:9], v[24:25]
	v_fma_f64 v[55:56], v[59:60], s[8:9], v[63:64]
	;; [unrolled: 1-line block ×7, first 2 shown]
	v_add_f64 v[22:23], v[28:29], v[12:13]
	v_add_f64 v[28:29], v[4:5], v[30:31]
	v_add_f64 v[30:31], v[6:7], v[32:33]
	v_fma_f64 v[59:60], v[16:17], s[10:11], v[20:21]
	v_add_f64 v[53:54], v[75:76], -v[18:19]
	v_add_f64 v[6:7], v[57:58], v[55:56]
	v_add_f64 v[4:5], v[24:25], -v[34:35]
	v_fma_f64 v[71:72], v[14:15], s[10:11], v[8:9]
	v_fma_f64 v[13:14], v[41:42], s[8:9], v[61:62]
	v_add_f64 v[22:23], v[22:23], -v[16:17]
	v_fma_f64 v[15:16], v[43:44], s[8:9], v[67:68]
	v_fma_f64 v[63:64], v[18:19], s[10:11], v[10:11]
	v_lshrrev_b32_e32 v10, 1, v78
	v_fma_f64 v[17:18], v[45:46], s[8:9], v[26:27]
	v_fma_f64 v[19:20], v[47:48], s[8:9], v[65:66]
	v_mul_f64 v[26:27], v[53:54], s[0:1]
	v_add_nc_u32_e32 v8, v10, v77
	v_lshrrev_b32_e32 v9, 4, v8
	v_add_nc_u32_e32 v8, 18, v40
	v_mul_lo_u32 v21, v9, 21
	v_fma_f64 v[9:10], v[53:54], s[4:5], v[49:50]
	s_mov_b32 s4, 0xe8584caa
	v_add_f64 v[13:14], v[13:14], -v[71:72]
	v_mul_f64 v[41:42], v[22:23], s[0:1]
	v_fma_f64 v[11:12], v[22:23], s[0:1], v[51:52]
	v_add_f64 v[15:16], v[69:70], v[15:16]
	v_and_b32_e32 v22, 0xff, v8
	v_add_f64 v[17:18], v[17:18], -v[63:64]
	v_add_f64 v[19:20], v[59:60], v[19:20]
	v_sub_nc_u32_e32 v21, v38, v21
	s_mov_b32 s0, s4
	v_mul_lo_u16 v22, v22, 57
	v_mul_u32_u24_e32 v38, 0x51, v21
	v_lshrrev_b16 v33, 9, v22
	v_fma_f64 v[21:22], v[26:27], 2.0, v[9:10]
	v_add_f64 v[25:26], v[0:1], v[28:29]
	v_add_f64 v[27:28], v[2:3], v[30:31]
	v_fma_f64 v[29:30], v[34:35], 2.0, v[4:5]
	v_fma_f64 v[23:24], v[41:42], -2.0, v[11:12]
	v_fma_f64 v[41:42], v[71:72], 2.0, v[13:14]
	v_fma_f64 v[43:44], v[69:70], -2.0, v[15:16]
	v_fma_f64 v[31:32], v[57:58], -2.0, v[6:7]
	v_mul_lo_u16 v0, v33, 9
	v_fma_f64 v[45:46], v[63:64], 2.0, v[17:18]
	v_fma_f64 v[47:48], v[59:60], -2.0, v[19:20]
	v_lshl_add_u32 v35, v38, 4, 0
	v_lshlrev_b32_e32 v2, 5, v40
	v_sub_nc_u16 v0, v8, v0
	v_mad_u32_u24 v1, 0x90, v40, v35
	ds_write_b128 v1, v[9:12] offset:48
	ds_write_b128 v1, v[25:28]
	ds_write_b128 v1, v[4:7] offset:16
	ds_write_b128 v1, v[13:16] offset:64
	;; [unrolled: 1-line block ×7, first 2 shown]
	v_and_b32_e32 v38, 0xff, v0
	s_waitcnt lgkmcnt(0)
	s_barrier
	buffer_gl0_inv
	s_clause 0x1
	global_load_dwordx4 v[3:6], v2, s[6:7]
	global_load_dwordx4 v[9:12], v2, s[6:7] offset:16
	v_lshlrev_b32_e32 v0, 5, v38
	s_clause 0x1
	global_load_dwordx4 v[13:16], v0, s[6:7]
	global_load_dwordx4 v[17:20], v0, s[6:7] offset:16
	v_lshlrev_b32_e32 v0, 7, v40
	v_lshl_add_u32 v7, v38, 4, v35
	v_sub_nc_u32_e32 v0, v1, v0
	ds_read_b128 v[21:24], v0 offset:432
	ds_read_b128 v[25:28], v0 offset:864
	;; [unrolled: 1-line block ×7, first 2 shown]
	v_lshl_add_u32 v1, v40, 4, v35
	s_waitcnt vmcnt(3) lgkmcnt(6)
	v_mul_f64 v[33:34], v[23:24], v[5:6]
	s_waitcnt vmcnt(2) lgkmcnt(5)
	v_mul_f64 v[57:58], v[27:28], v[11:12]
	v_mul_f64 v[59:60], v[21:22], v[5:6]
	;; [unrolled: 1-line block ×3, first 2 shown]
	s_waitcnt lgkmcnt(4)
	v_mul_f64 v[63:64], v[31:32], v[5:6]
	s_waitcnt lgkmcnt(3)
	v_mul_f64 v[65:66], v[43:44], v[11:12]
	v_mul_f64 v[5:6], v[29:30], v[5:6]
	;; [unrolled: 1-line block ×3, first 2 shown]
	s_waitcnt vmcnt(1) lgkmcnt(2)
	v_mul_f64 v[67:68], v[47:48], v[15:16]
	s_waitcnt vmcnt(0) lgkmcnt(1)
	v_mul_f64 v[69:70], v[51:52], v[19:20]
	v_mul_f64 v[15:16], v[45:46], v[15:16]
	;; [unrolled: 1-line block ×3, first 2 shown]
	v_fma_f64 v[21:22], v[21:22], v[3:4], v[33:34]
	v_fma_f64 v[25:26], v[25:26], v[9:10], v[57:58]
	v_fma_f64 v[23:24], v[23:24], v[3:4], -v[59:60]
	v_fma_f64 v[27:28], v[27:28], v[9:10], -v[61:62]
	v_fma_f64 v[29:30], v[29:30], v[3:4], v[63:64]
	v_fma_f64 v[33:34], v[41:42], v[9:10], v[65:66]
	v_fma_f64 v[31:32], v[31:32], v[3:4], -v[5:6]
	v_fma_f64 v[41:42], v[43:44], v[9:10], -v[11:12]
	;; [unrolled: 4-line block ×3, first 2 shown]
	ds_read_b128 v[3:6], v1
	ds_read_b128 v[9:12], v0 offset:144
	s_waitcnt lgkmcnt(0)
	s_barrier
	buffer_gl0_inv
	v_add_f64 v[17:18], v[21:22], v[25:26]
	v_add_f64 v[73:74], v[21:22], -v[25:26]
	v_add_f64 v[19:20], v[23:24], v[27:28]
	v_add_f64 v[47:48], v[29:30], v[33:34]
	v_add_f64 v[77:78], v[29:30], -v[33:34]
	v_add_f64 v[49:50], v[31:32], v[41:42]
	v_add_f64 v[67:68], v[53:54], v[43:44]
	;; [unrolled: 1-line block ×8, first 2 shown]
	v_add_f64 v[23:24], v[23:24], -v[27:28]
	v_add_f64 v[31:32], v[31:32], -v[41:42]
	v_add_f64 v[69:70], v[55:56], v[13:14]
	v_add_f64 v[79:80], v[13:14], -v[15:16]
	v_fma_f64 v[71:72], v[17:18], -0.5, v[3:4]
	v_fma_f64 v[75:76], v[19:20], -0.5, v[5:6]
	;; [unrolled: 1-line block ×4, first 2 shown]
	v_add_f64 v[13:14], v[67:68], v[45:46]
	v_fma_f64 v[51:52], v[51:52], -0.5, v[53:54]
	v_add_f64 v[53:54], v[43:44], -v[45:46]
	v_fma_f64 v[55:56], v[57:58], -0.5, v[55:56]
	v_add_f64 v[5:6], v[61:62], v[27:28]
	v_add_f64 v[3:4], v[59:60], v[25:26]
	;; [unrolled: 1-line block ×5, first 2 shown]
	v_fma_f64 v[17:18], v[23:24], s[4:5], v[71:72]
	v_fma_f64 v[21:22], v[23:24], s[0:1], v[71:72]
	;; [unrolled: 1-line block ×12, first 2 shown]
	ds_write_b128 v0, v[3:6]
	ds_write_b128 v0, v[9:12] offset:432
	ds_write_b128 v0, v[17:20] offset:144
	;; [unrolled: 1-line block ×8, first 2 shown]
	s_waitcnt lgkmcnt(0)
	s_barrier
	buffer_gl0_inv
	s_and_saveexec_b32 s8, vcc_lo
	s_cbranch_execz .LBB0_4
; %bb.3:
	v_add_co_u32 v6, s8, s6, v2
	v_add_co_ci_u32_e64 v7, null, s7, 0, s8
	v_add_nc_u32_e32 v35, 9, v40
	v_lshlrev_b32_e32 v13, 5, v8
	v_add_co_u32 v36, vcc_lo, s2, v36
	global_load_dwordx4 v[2:5], v[6:7], off offset:288
	v_lshlrev_b32_e32 v25, 5, v35
	s_clause 0x4
	global_load_dwordx4 v[9:12], v13, s[6:7] offset:288
	global_load_dwordx4 v[13:16], v13, s[6:7] offset:304
	global_load_dwordx4 v[17:20], v[6:7], off offset:304
	global_load_dwordx4 v[21:24], v25, s[6:7] offset:288
	global_load_dwordx4 v[25:28], v25, s[6:7] offset:304
	ds_read_b128 v[29:32], v0 offset:432
	ds_read_b128 v[40:43], v0 offset:1152
	;; [unrolled: 1-line block ×7, first 2 shown]
	v_add_co_ci_u32_e32 v37, vcc_lo, s3, v37, vcc_lo
	v_add_co_u32 v36, vcc_lo, v36, v39
	v_add_co_ci_u32_e32 v37, vcc_lo, 0, v37, vcc_lo
	s_waitcnt vmcnt(4) lgkmcnt(4)
	v_mul_f64 v[33:34], v[11:12], v[44:45]
	v_mul_f64 v[6:7], v[4:5], v[29:30]
	;; [unrolled: 1-line block ×3, first 2 shown]
	s_waitcnt vmcnt(3)
	v_mul_f64 v[64:65], v[15:16], v[40:41]
	s_waitcnt vmcnt(2) lgkmcnt(2)
	v_mul_f64 v[66:67], v[19:20], v[52:53]
	v_mul_f64 v[52:53], v[17:18], v[52:53]
	s_waitcnt vmcnt(1)
	v_mul_f64 v[68:69], v[23:24], v[48:49]
	s_waitcnt vmcnt(0) lgkmcnt(1)
	v_mul_f64 v[70:71], v[27:28], v[56:57]
	v_mul_f64 v[40:41], v[13:14], v[40:41]
	v_fma_f64 v[33:34], v[9:10], v[46:47], -v[33:34]
	v_fma_f64 v[6:7], v[2:3], v[31:32], -v[6:7]
	v_fma_f64 v[29:30], v[31:32], v[4:5], v[29:30]
	v_mul_f64 v[2:3], v[21:22], v[48:49]
	v_mul_f64 v[4:5], v[25:26], v[56:57]
	;; [unrolled: 1-line block ×3, first 2 shown]
	v_fma_f64 v[13:14], v[13:14], v[42:43], -v[64:65]
	v_fma_f64 v[17:18], v[17:18], v[54:55], -v[66:67]
	v_fma_f64 v[19:20], v[54:55], v[19:20], v[52:53]
	v_fma_f64 v[21:22], v[21:22], v[50:51], -v[68:69]
	v_fma_f64 v[25:26], v[25:26], v[58:59], -v[70:71]
	v_fma_f64 v[15:16], v[42:43], v[15:16], v[40:41]
	s_waitcnt lgkmcnt(0)
	v_add_f64 v[54:55], v[62:63], v[33:34]
	v_fma_f64 v[23:24], v[50:51], v[23:24], v[2:3]
	v_fma_f64 v[27:28], v[58:59], v[27:28], v[4:5]
	;; [unrolled: 1-line block ×3, first 2 shown]
	v_add_f64 v[40:41], v[33:34], v[13:14]
	v_add_f64 v[42:43], v[6:7], v[17:18]
	;; [unrolled: 1-line block ×3, first 2 shown]
	ds_read_b128 v[1:4], v1
	ds_read_b128 v[9:12], v0 offset:144
	v_add_f64 v[46:47], v[21:22], v[25:26]
	v_add_f64 v[56:57], v[29:30], -v[19:20]
	v_add_f64 v[70:71], v[21:22], -v[25:26]
	;; [unrolled: 1-line block ×3, first 2 shown]
	v_mul_hi_u32 v0, 0x97b425f, v35
	v_mul_hi_u32 v5, 0x97b425f, v8
	v_mul_u32_u24_e32 v0, 54, v0
	v_mul_u32_u24_e32 v38, 54, v5
	v_add_f64 v[48:49], v[23:24], v[27:28]
	v_add_f64 v[50:51], v[31:32], v[15:16]
	s_waitcnt lgkmcnt(1)
	v_add_f64 v[58:59], v[3:4], v[6:7]
	v_add_f64 v[29:30], v[29:30], v[1:2]
	v_fma_f64 v[40:41], v[40:41], -0.5, v[62:63]
	v_fma_f64 v[42:43], v[42:43], -0.5, v[3:4]
	v_add_f64 v[62:63], v[6:7], -v[17:18]
	v_fma_f64 v[44:45], v[44:45], -0.5, v[1:2]
	v_add_f64 v[52:53], v[31:32], -v[15:16]
	v_add_f64 v[31:32], v[31:32], v[60:61]
	s_waitcnt lgkmcnt(0)
	v_add_f64 v[64:65], v[11:12], v[21:22]
	v_add_f64 v[66:67], v[23:24], v[9:10]
	v_add_f64 v[68:69], v[23:24], -v[27:28]
	v_fma_f64 v[46:47], v[46:47], -0.5, v[11:12]
	v_add_f64 v[2:3], v[54:55], v[13:14]
	v_fma_f64 v[48:49], v[48:49], -0.5, v[9:10]
	v_fma_f64 v[50:51], v[50:51], -0.5, v[60:61]
	v_add_f64 v[6:7], v[58:59], v[17:18]
	v_add_f64 v[4:5], v[19:20], v[29:30]
	v_lshlrev_b32_e32 v60, 4, v0
	v_fma_f64 v[22:23], v[56:57], s[0:1], v[42:43]
	v_fma_f64 v[18:19], v[56:57], s[4:5], v[42:43]
	;; [unrolled: 1-line block ×4, first 2 shown]
	v_add_f64 v[0:1], v[15:16], v[31:32]
	v_fma_f64 v[16:17], v[62:63], s[0:1], v[44:45]
	v_add_f64 v[10:11], v[64:65], v[25:26]
	v_add_f64 v[8:9], v[27:28], v[66:67]
	v_fma_f64 v[30:31], v[68:69], s[0:1], v[46:47]
	v_fma_f64 v[26:27], v[68:69], s[4:5], v[46:47]
	;; [unrolled: 1-line block ×3, first 2 shown]
	v_lshlrev_b32_e32 v40, 4, v38
	v_add_co_u32 v38, vcc_lo, v36, v60
	v_add_co_ci_u32_e32 v39, vcc_lo, 0, v37, vcc_lo
	v_add_co_u32 v40, vcc_lo, v36, v40
	v_fma_f64 v[28:29], v[70:71], s[4:5], v[48:49]
	v_fma_f64 v[24:25], v[70:71], s[0:1], v[48:49]
	;; [unrolled: 1-line block ×4, first 2 shown]
	v_add_co_ci_u32_e32 v41, vcc_lo, 0, v37, vcc_lo
	global_store_dwordx4 v[36:37], v[4:7], off
	global_store_dwordx4 v[36:37], v[20:23], off offset:432
	global_store_dwordx4 v[36:37], v[16:19], off offset:864
	;; [unrolled: 1-line block ×8, first 2 shown]
.LBB0_4:
	s_endpgm
	.section	.rodata,"a",@progbits
	.p2align	6, 0x0
	.amdhsa_kernel fft_rtc_back_len81_factors_9_3_3_wgs_189_tpt_9_dim1_dp_ip_CI_unitstride_sbrr_dirReg
		.amdhsa_group_segment_fixed_size 0
		.amdhsa_private_segment_fixed_size 0
		.amdhsa_kernarg_size 80
		.amdhsa_user_sgpr_count 6
		.amdhsa_user_sgpr_private_segment_buffer 1
		.amdhsa_user_sgpr_dispatch_ptr 0
		.amdhsa_user_sgpr_queue_ptr 0
		.amdhsa_user_sgpr_kernarg_segment_ptr 1
		.amdhsa_user_sgpr_dispatch_id 0
		.amdhsa_user_sgpr_flat_scratch_init 0
		.amdhsa_user_sgpr_private_segment_size 0
		.amdhsa_wavefront_size32 1
		.amdhsa_uses_dynamic_stack 0
		.amdhsa_system_sgpr_private_segment_wavefront_offset 0
		.amdhsa_system_sgpr_workgroup_id_x 1
		.amdhsa_system_sgpr_workgroup_id_y 0
		.amdhsa_system_sgpr_workgroup_id_z 0
		.amdhsa_system_sgpr_workgroup_info 0
		.amdhsa_system_vgpr_workitem_id 0
		.amdhsa_next_free_vgpr 81
		.amdhsa_next_free_sgpr 12
		.amdhsa_reserve_vcc 1
		.amdhsa_reserve_flat_scratch 0
		.amdhsa_float_round_mode_32 0
		.amdhsa_float_round_mode_16_64 0
		.amdhsa_float_denorm_mode_32 3
		.amdhsa_float_denorm_mode_16_64 3
		.amdhsa_dx10_clamp 1
		.amdhsa_ieee_mode 1
		.amdhsa_fp16_overflow 0
		.amdhsa_workgroup_processor_mode 1
		.amdhsa_memory_ordered 1
		.amdhsa_forward_progress 0
		.amdhsa_shared_vgpr_count 0
		.amdhsa_exception_fp_ieee_invalid_op 0
		.amdhsa_exception_fp_denorm_src 0
		.amdhsa_exception_fp_ieee_div_zero 0
		.amdhsa_exception_fp_ieee_overflow 0
		.amdhsa_exception_fp_ieee_underflow 0
		.amdhsa_exception_fp_ieee_inexact 0
		.amdhsa_exception_int_div_zero 0
	.end_amdhsa_kernel
	.text
.Lfunc_end0:
	.size	fft_rtc_back_len81_factors_9_3_3_wgs_189_tpt_9_dim1_dp_ip_CI_unitstride_sbrr_dirReg, .Lfunc_end0-fft_rtc_back_len81_factors_9_3_3_wgs_189_tpt_9_dim1_dp_ip_CI_unitstride_sbrr_dirReg
                                        ; -- End function
	.section	.AMDGPU.csdata,"",@progbits
; Kernel info:
; codeLenInByte = 3096
; NumSgprs: 14
; NumVgprs: 81
; ScratchSize: 0
; MemoryBound: 1
; FloatMode: 240
; IeeeMode: 1
; LDSByteSize: 0 bytes/workgroup (compile time only)
; SGPRBlocks: 1
; VGPRBlocks: 10
; NumSGPRsForWavesPerEU: 14
; NumVGPRsForWavesPerEU: 81
; Occupancy: 10
; WaveLimiterHint : 1
; COMPUTE_PGM_RSRC2:SCRATCH_EN: 0
; COMPUTE_PGM_RSRC2:USER_SGPR: 6
; COMPUTE_PGM_RSRC2:TRAP_HANDLER: 0
; COMPUTE_PGM_RSRC2:TGID_X_EN: 1
; COMPUTE_PGM_RSRC2:TGID_Y_EN: 0
; COMPUTE_PGM_RSRC2:TGID_Z_EN: 0
; COMPUTE_PGM_RSRC2:TIDIG_COMP_CNT: 0
	.text
	.p2alignl 6, 3214868480
	.fill 48, 4, 3214868480
	.type	__hip_cuid_a09d0e524c750d63,@object ; @__hip_cuid_a09d0e524c750d63
	.section	.bss,"aw",@nobits
	.globl	__hip_cuid_a09d0e524c750d63
__hip_cuid_a09d0e524c750d63:
	.byte	0                               ; 0x0
	.size	__hip_cuid_a09d0e524c750d63, 1

	.ident	"AMD clang version 19.0.0git (https://github.com/RadeonOpenCompute/llvm-project roc-6.4.0 25133 c7fe45cf4b819c5991fe208aaa96edf142730f1d)"
	.section	".note.GNU-stack","",@progbits
	.addrsig
	.addrsig_sym __hip_cuid_a09d0e524c750d63
	.amdgpu_metadata
---
amdhsa.kernels:
  - .args:
      - .actual_access:  read_only
        .address_space:  global
        .offset:         0
        .size:           8
        .value_kind:     global_buffer
      - .actual_access:  read_only
        .address_space:  global
        .offset:         8
        .size:           8
        .value_kind:     global_buffer
      - .actual_access:  read_only
        .address_space:  global
        .offset:         16
        .size:           8
        .value_kind:     global_buffer
      - .offset:         24
        .size:           8
        .value_kind:     by_value
      - .actual_access:  read_only
        .address_space:  global
        .offset:         32
        .size:           8
        .value_kind:     global_buffer
      - .actual_access:  read_only
        .address_space:  global
        .offset:         40
        .size:           8
        .value_kind:     global_buffer
      - .offset:         48
        .size:           4
        .value_kind:     by_value
      - .actual_access:  read_only
        .address_space:  global
        .offset:         56
        .size:           8
        .value_kind:     global_buffer
      - .actual_access:  read_only
        .address_space:  global
        .offset:         64
        .size:           8
        .value_kind:     global_buffer
      - .address_space:  global
        .offset:         72
        .size:           8
        .value_kind:     global_buffer
    .group_segment_fixed_size: 0
    .kernarg_segment_align: 8
    .kernarg_segment_size: 80
    .language:       OpenCL C
    .language_version:
      - 2
      - 0
    .max_flat_workgroup_size: 189
    .name:           fft_rtc_back_len81_factors_9_3_3_wgs_189_tpt_9_dim1_dp_ip_CI_unitstride_sbrr_dirReg
    .private_segment_fixed_size: 0
    .sgpr_count:     14
    .sgpr_spill_count: 0
    .symbol:         fft_rtc_back_len81_factors_9_3_3_wgs_189_tpt_9_dim1_dp_ip_CI_unitstride_sbrr_dirReg.kd
    .uniform_work_group_size: 1
    .uses_dynamic_stack: false
    .vgpr_count:     81
    .vgpr_spill_count: 0
    .wavefront_size: 32
    .workgroup_processor_mode: 1
amdhsa.target:   amdgcn-amd-amdhsa--gfx1030
amdhsa.version:
  - 1
  - 2
...

	.end_amdgpu_metadata
